;; amdgpu-corpus repo=ROCm/rocFFT kind=compiled arch=gfx1030 opt=O3
	.text
	.amdgcn_target "amdgcn-amd-amdhsa--gfx1030"
	.amdhsa_code_object_version 6
	.protected	fft_rtc_back_len208_factors_13_16_wgs_144_tpt_16_sp_ip_CI_sbcc ; -- Begin function fft_rtc_back_len208_factors_13_16_wgs_144_tpt_16_sp_ip_CI_sbcc
	.globl	fft_rtc_back_len208_factors_13_16_wgs_144_tpt_16_sp_ip_CI_sbcc
	.p2align	8
	.type	fft_rtc_back_len208_factors_13_16_wgs_144_tpt_16_sp_ip_CI_sbcc,@function
fft_rtc_back_len208_factors_13_16_wgs_144_tpt_16_sp_ip_CI_sbcc: ; @fft_rtc_back_len208_factors_13_16_wgs_144_tpt_16_sp_ip_CI_sbcc
; %bb.0:
	s_load_dwordx4 s[8:11], s[4:5], 0x18
	s_mov_b64 s[22:23], 0
	s_waitcnt lgkmcnt(0)
	s_load_dwordx2 s[16:17], s[8:9], 0x8
	s_waitcnt lgkmcnt(0)
	s_add_u32 s0, s16, -1
	s_addc_u32 s1, s17, -1
	s_add_u32 s2, 0, 0x71c4fc00
	s_addc_u32 s3, 0, 0x7c
	s_mul_hi_u32 s12, s2, -9
	s_add_i32 s3, s3, 0x1c71c6a0
	s_sub_i32 s12, s12, s2
	s_mul_i32 s14, s3, -9
	s_mul_i32 s7, s2, -9
	s_add_i32 s12, s12, s14
	s_mul_hi_u32 s13, s2, s7
	s_mul_i32 s18, s2, s12
	s_mul_hi_u32 s14, s2, s12
	s_mul_hi_u32 s15, s3, s7
	s_mul_i32 s7, s3, s7
	s_add_u32 s13, s13, s18
	s_addc_u32 s14, 0, s14
	s_mul_hi_u32 s19, s3, s12
	s_add_u32 s7, s13, s7
	s_mul_i32 s12, s3, s12
	s_addc_u32 s7, s14, s15
	s_addc_u32 s13, s19, 0
	s_add_u32 s7, s7, s12
	v_add_co_u32 v1, s2, s2, s7
	s_addc_u32 s7, 0, s13
	s_cmp_lg_u32 s2, 0
	s_addc_u32 s2, s3, s7
	v_readfirstlane_b32 s3, v1
	s_mul_i32 s12, s0, s2
	s_mul_hi_u32 s7, s0, s2
	s_mul_hi_u32 s13, s1, s2
	s_mul_i32 s2, s1, s2
	s_mul_hi_u32 s14, s0, s3
	s_mul_hi_u32 s15, s1, s3
	s_mul_i32 s3, s1, s3
	s_add_u32 s12, s14, s12
	s_addc_u32 s7, 0, s7
	s_add_u32 s3, s12, s3
	s_addc_u32 s3, s7, s15
	s_addc_u32 s7, s13, 0
	s_add_u32 s2, s3, s2
	s_addc_u32 s3, 0, s7
	s_mul_i32 s12, s2, 9
	s_add_u32 s7, s2, 1
	v_sub_co_u32 v1, s0, s0, s12
	s_mul_hi_u32 s12, s2, 9
	s_addc_u32 s13, s3, 0
	s_mul_i32 s14, s3, 9
	v_sub_co_u32 v2, s15, v1, 9
	s_add_u32 s18, s2, 2
	s_addc_u32 s19, s3, 0
	s_add_i32 s12, s12, s14
	s_cmp_lg_u32 s0, 0
	v_readfirstlane_b32 s0, v2
	s_subb_u32 s1, s1, s12
	s_cmp_lg_u32 s15, 0
	s_subb_u32 s12, s1, 0
	s_cmp_gt_u32 s0, 8
	s_cselect_b32 s0, -1, 0
	s_cmp_eq_u32 s12, 0
	v_readfirstlane_b32 s12, v1
	s_cselect_b32 s0, s0, -1
	s_cmp_lg_u32 s0, 0
	s_cselect_b32 s0, s18, s7
	s_cselect_b32 s13, s19, s13
	s_cmp_gt_u32 s12, 8
	s_cselect_b32 s7, -1, 0
	s_cmp_eq_u32 s1, 0
	s_cselect_b32 s1, s7, -1
	s_mov_b32 s7, 0
	s_cmp_lg_u32 s1, 0
	s_cselect_b32 s0, s0, s2
	s_cselect_b32 s1, s13, s3
	s_add_u32 s18, s0, 1
	s_addc_u32 s19, s1, 0
	v_cmp_lt_u64_e64 s0, s[6:7], s[18:19]
	s_and_b32 vcc_lo, exec_lo, s0
	s_cbranch_vccnz .LBB0_2
; %bb.1:
	v_cvt_f32_u32_e32 v1, s18
	s_sub_i32 s1, 0, s18
	s_mov_b32 s23, s7
	v_rcp_iflag_f32_e32 v1, v1
	v_mul_f32_e32 v1, 0x4f7ffffe, v1
	v_cvt_u32_f32_e32 v1, v1
	v_readfirstlane_b32 s0, v1
	s_mul_i32 s1, s1, s0
	s_mul_hi_u32 s1, s0, s1
	s_add_i32 s0, s0, s1
	s_mul_hi_u32 s0, s6, s0
	s_mul_i32 s1, s0, s18
	s_add_i32 s2, s0, 1
	s_sub_i32 s1, s6, s1
	s_sub_i32 s3, s1, s18
	s_cmp_ge_u32 s1, s18
	s_cselect_b32 s0, s2, s0
	s_cselect_b32 s1, s3, s1
	s_add_i32 s2, s0, 1
	s_cmp_ge_u32 s1, s18
	s_cselect_b32 s22, s2, s0
.LBB0_2:
	s_load_dwordx4 s[0:3], s[10:11], 0x0
	s_clause 0x2
	s_load_dwordx2 s[20:21], s[4:5], 0x10
	s_load_dwordx2 s[12:13], s[4:5], 0x58
	;; [unrolled: 1-line block ×3, first 2 shown]
	s_mul_i32 s4, s22, s19
	s_mul_hi_u32 s5, s22, s18
	s_mul_i32 s24, s22, s18
	s_add_i32 s5, s5, s4
	s_sub_u32 s34, s6, s24
	s_subb_u32 s4, 0, s5
	s_mul_hi_u32 s33, s34, 9
	s_mul_i32 s4, s4, 9
	s_mul_i32 s34, s34, 9
	s_add_i32 s33, s33, s4
	s_waitcnt lgkmcnt(0)
	s_mul_i32 s4, s2, s33
	v_cmp_lt_u64_e64 s24, s[20:21], 3
	s_mul_hi_u32 s5, s2, s34
	s_mul_i32 s36, s2, s34
	s_add_i32 s4, s5, s4
	s_mul_i32 s5, s3, s34
	s_add_i32 s35, s4, s5
	s_and_b32 vcc_lo, exec_lo, s24
	s_cbranch_vccnz .LBB0_12
; %bb.3:
	s_add_u32 s4, s10, 16
	s_addc_u32 s5, s11, 0
	s_add_u32 s8, s8, 16
	s_addc_u32 s9, s9, 0
	s_mov_b64 s[24:25], 2
	s_mov_b32 s26, 0
.LBB0_4:                                ; =>This Inner Loop Header: Depth=1
	s_load_dwordx2 s[28:29], s[8:9], 0x0
	s_waitcnt lgkmcnt(0)
	s_or_b64 s[30:31], s[22:23], s[28:29]
	s_mov_b32 s27, s31
                                        ; implicit-def: $sgpr30_sgpr31
	s_cmp_lg_u64 s[26:27], 0
	s_mov_b32 s27, -1
	s_cbranch_scc0 .LBB0_6
; %bb.5:                                ;   in Loop: Header=BB0_4 Depth=1
	v_cvt_f32_u32_e32 v1, s28
	v_cvt_f32_u32_e32 v2, s29
	s_sub_u32 s31, 0, s28
	s_subb_u32 s37, 0, s29
	v_fmac_f32_e32 v1, 0x4f800000, v2
	v_rcp_f32_e32 v1, v1
	v_mul_f32_e32 v1, 0x5f7ffffc, v1
	v_mul_f32_e32 v2, 0x2f800000, v1
	v_trunc_f32_e32 v2, v2
	v_fmac_f32_e32 v1, 0xcf800000, v2
	v_cvt_u32_f32_e32 v2, v2
	v_cvt_u32_f32_e32 v1, v1
	v_readfirstlane_b32 s27, v2
	v_readfirstlane_b32 s30, v1
	s_mul_i32 s38, s31, s27
	s_mul_hi_u32 s40, s31, s30
	s_mul_i32 s39, s37, s30
	s_add_i32 s38, s40, s38
	s_mul_i32 s41, s31, s30
	s_add_i32 s38, s38, s39
	s_mul_hi_u32 s40, s30, s41
	s_mul_hi_u32 s42, s27, s41
	s_mul_i32 s39, s27, s41
	s_mul_hi_u32 s41, s30, s38
	s_mul_i32 s30, s30, s38
	s_mul_hi_u32 s43, s27, s38
	s_add_u32 s30, s40, s30
	s_addc_u32 s40, 0, s41
	s_add_u32 s30, s30, s39
	s_mul_i32 s38, s27, s38
	s_addc_u32 s30, s40, s42
	s_addc_u32 s39, s43, 0
	s_add_u32 s30, s30, s38
	s_addc_u32 s38, 0, s39
	v_add_co_u32 v1, s30, v1, s30
	s_cmp_lg_u32 s30, 0
	s_addc_u32 s27, s27, s38
	v_readfirstlane_b32 s30, v1
	s_mul_i32 s38, s31, s27
	s_mul_hi_u32 s39, s31, s30
	s_mul_i32 s37, s37, s30
	s_add_i32 s38, s39, s38
	s_mul_i32 s31, s31, s30
	s_add_i32 s38, s38, s37
	s_mul_hi_u32 s39, s27, s31
	s_mul_i32 s40, s27, s31
	s_mul_hi_u32 s31, s30, s31
	s_mul_hi_u32 s41, s30, s38
	s_mul_i32 s30, s30, s38
	s_mul_hi_u32 s37, s27, s38
	s_add_u32 s30, s31, s30
	s_addc_u32 s31, 0, s41
	s_add_u32 s30, s30, s40
	s_mul_i32 s38, s27, s38
	s_addc_u32 s30, s31, s39
	s_addc_u32 s31, s37, 0
	s_add_u32 s30, s30, s38
	s_addc_u32 s31, 0, s31
	v_add_co_u32 v1, s30, v1, s30
	s_cmp_lg_u32 s30, 0
	s_addc_u32 s27, s27, s31
	v_readfirstlane_b32 s30, v1
	s_mul_i32 s37, s22, s27
	s_mul_hi_u32 s31, s22, s27
	s_mul_hi_u32 s38, s23, s27
	s_mul_i32 s27, s23, s27
	s_mul_hi_u32 s39, s22, s30
	s_mul_hi_u32 s40, s23, s30
	s_mul_i32 s30, s23, s30
	s_add_u32 s37, s39, s37
	s_addc_u32 s31, 0, s31
	s_add_u32 s30, s37, s30
	s_addc_u32 s30, s31, s40
	s_addc_u32 s31, s38, 0
	s_add_u32 s30, s30, s27
	s_addc_u32 s31, 0, s31
	s_mul_hi_u32 s27, s28, s30
	s_mul_i32 s38, s28, s31
	s_mul_i32 s39, s28, s30
	s_add_i32 s27, s27, s38
	v_sub_co_u32 v1, s38, s22, s39
	s_mul_i32 s37, s29, s30
	s_add_i32 s27, s27, s37
	v_sub_co_u32 v2, s39, v1, s28
	s_sub_i32 s37, s23, s27
	s_cmp_lg_u32 s38, 0
	s_subb_u32 s37, s37, s29
	s_cmp_lg_u32 s39, 0
	v_readfirstlane_b32 s39, v2
	s_subb_u32 s37, s37, 0
	s_cmp_ge_u32 s37, s29
	s_cselect_b32 s40, -1, 0
	s_cmp_ge_u32 s39, s28
	s_cselect_b32 s39, -1, 0
	s_cmp_eq_u32 s37, s29
	s_cselect_b32 s37, s39, s40
	s_add_u32 s39, s30, 1
	s_addc_u32 s40, s31, 0
	s_add_u32 s41, s30, 2
	s_addc_u32 s42, s31, 0
	s_cmp_lg_u32 s37, 0
	s_cselect_b32 s37, s41, s39
	s_cselect_b32 s39, s42, s40
	s_cmp_lg_u32 s38, 0
	v_readfirstlane_b32 s38, v1
	s_subb_u32 s27, s23, s27
	s_cmp_ge_u32 s27, s29
	s_cselect_b32 s40, -1, 0
	s_cmp_ge_u32 s38, s28
	s_cselect_b32 s38, -1, 0
	s_cmp_eq_u32 s27, s29
	s_cselect_b32 s27, s38, s40
	s_cmp_lg_u32 s27, 0
	s_mov_b32 s27, 0
	s_cselect_b32 s31, s39, s31
	s_cselect_b32 s30, s37, s30
.LBB0_6:                                ;   in Loop: Header=BB0_4 Depth=1
	s_andn2_b32 vcc_lo, exec_lo, s27
	s_cbranch_vccnz .LBB0_8
; %bb.7:                                ;   in Loop: Header=BB0_4 Depth=1
	v_cvt_f32_u32_e32 v1, s28
	s_sub_i32 s30, 0, s28
	v_rcp_iflag_f32_e32 v1, v1
	v_mul_f32_e32 v1, 0x4f7ffffe, v1
	v_cvt_u32_f32_e32 v1, v1
	v_readfirstlane_b32 s27, v1
	s_mul_i32 s30, s30, s27
	s_mul_hi_u32 s30, s27, s30
	s_add_i32 s27, s27, s30
	s_mul_hi_u32 s27, s22, s27
	s_mul_i32 s30, s27, s28
	s_add_i32 s31, s27, 1
	s_sub_i32 s30, s22, s30
	s_sub_i32 s37, s30, s28
	s_cmp_ge_u32 s30, s28
	s_cselect_b32 s27, s31, s27
	s_cselect_b32 s30, s37, s30
	s_add_i32 s31, s27, 1
	s_cmp_ge_u32 s30, s28
	s_cselect_b32 s30, s31, s27
	s_mov_b32 s31, s26
.LBB0_8:                                ;   in Loop: Header=BB0_4 Depth=1
	s_load_dwordx2 s[38:39], s[4:5], 0x0
	s_mul_i32 s19, s28, s19
	s_mul_hi_u32 s27, s28, s18
	s_mul_i32 s37, s29, s18
	s_mul_i32 s29, s30, s29
	s_mul_hi_u32 s40, s30, s28
	s_mul_i32 s41, s31, s28
	s_add_i32 s19, s27, s19
	s_add_i32 s27, s40, s29
	s_mul_i32 s42, s30, s28
	s_add_i32 s19, s19, s37
	s_add_i32 s27, s27, s41
	s_sub_u32 s22, s22, s42
	s_subb_u32 s23, s23, s27
	s_mul_i32 s18, s28, s18
	s_waitcnt lgkmcnt(0)
	s_mul_i32 s23, s38, s23
	s_mul_hi_u32 s27, s38, s22
	s_add_i32 s23, s27, s23
	s_mul_i32 s27, s39, s22
	s_mul_i32 s22, s38, s22
	s_add_i32 s23, s23, s27
	s_add_u32 s36, s22, s36
	s_addc_u32 s35, s23, s35
	s_add_u32 s24, s24, 1
	s_addc_u32 s25, s25, 0
	s_add_u32 s4, s4, 8
	v_cmp_ge_u64_e64 s22, s[24:25], s[20:21]
	s_addc_u32 s5, s5, 0
	s_add_u32 s8, s8, 8
	s_addc_u32 s9, s9, 0
	s_and_b32 vcc_lo, exec_lo, s22
	s_cbranch_vccnz .LBB0_10
; %bb.9:                                ;   in Loop: Header=BB0_4 Depth=1
	s_mov_b64 s[22:23], s[30:31]
	s_branch .LBB0_4
.LBB0_10:
	v_cmp_lt_u64_e64 s4, s[6:7], s[18:19]
	s_mov_b64 s[22:23], 0
	s_and_b32 vcc_lo, exec_lo, s4
	s_cbranch_vccnz .LBB0_12
; %bb.11:
	v_cvt_f32_u32_e32 v1, s18
	s_sub_i32 s5, 0, s18
	v_rcp_iflag_f32_e32 v1, v1
	v_mul_f32_e32 v1, 0x4f7ffffe, v1
	v_cvt_u32_f32_e32 v1, v1
	v_readfirstlane_b32 s4, v1
	s_mul_i32 s5, s5, s4
	s_mul_hi_u32 s5, s4, s5
	s_add_i32 s4, s4, s5
	s_mul_hi_u32 s4, s6, s4
	s_mul_i32 s5, s4, s18
	s_sub_i32 s5, s6, s5
	s_add_i32 s6, s4, 1
	s_sub_i32 s7, s5, s18
	s_cmp_ge_u32 s5, s18
	s_cselect_b32 s4, s6, s4
	s_cselect_b32 s5, s7, s5
	s_add_i32 s6, s4, 1
	s_cmp_ge_u32 s5, s18
	s_cselect_b32 s22, s6, s4
.LBB0_12:
	s_lshl_b64 s[4:5], s[20:21], 3
	v_mul_u32_u24_e32 v1, 0x1c72, v0
	s_add_u32 s4, s10, s4
	s_addc_u32 s5, s11, s5
	s_load_dwordx2 s[4:5], s[4:5], 0x0
	v_lshrrev_b32_e32 v44, 16, v1
	v_mul_lo_u16 v1, v44, 9
	v_lshlrev_b32_e32 v45, 3, v44
	v_add_nc_u32_e32 v43, 16, v44
	v_or_b32_e32 v42, 32, v44
	v_add_nc_u32_e32 v41, 48, v44
	v_sub_nc_u16 v1, v0, v1
	v_or_b32_e32 v40, 64, v44
	v_add_nc_u32_e32 v39, 0x50, v44
	v_or_b32_e32 v38, 0x60, v44
	v_add_nc_u32_e32 v37, 0x70, v44
	v_and_b32_e32 v46, 0xffff, v1
	v_or_b32_e32 v36, 0x80, v44
	v_add_nc_u32_e32 v35, 0x90, v44
	v_or_b32_e32 v33, 0xa0, v44
	s_waitcnt lgkmcnt(0)
	s_mul_i32 s5, s5, s22
	s_mul_hi_u32 s6, s4, s22
	s_mul_i32 s4, s4, s22
	v_add_co_u32 v1, s7, s34, v46
	s_add_i32 s6, s6, s5
	v_add_co_ci_u32_e64 v2, null, s33, 0, s7
	s_add_u32 s4, s4, s36
	s_addc_u32 s5, s6, s35
	s_add_u32 s6, s34, 9
	s_addc_u32 s7, s33, 0
	v_cmp_gt_u64_e32 vcc_lo, s[16:17], v[1:2]
	v_cmp_le_u64_e64 s6, s[6:7], s[16:17]
	v_mul_u32_u24_e32 v47, 0x680, v46
	v_add_nc_u32_e32 v34, 0xb0, v44
	v_or_b32_e32 v32, 0xc0, v44
	s_or_b32 s6, s6, vcc_lo
	s_and_saveexec_b32 s7, s6
	s_cbranch_execz .LBB0_14
; %bb.13:
	v_mad_u64_u32 v[1:2], null, s2, v46, 0
	v_mad_u64_u32 v[3:4], null, s0, v44, 0
	;; [unrolled: 1-line block ×4, first 2 shown]
	s_lshl_b64 s[8:9], s[4:5], 3
	v_mad_u64_u32 v[15:16], null, s0, v38, 0
	v_mad_u64_u32 v[9:10], null, s3, v46, v[2:3]
	v_mov_b32_e32 v2, v6
	v_mad_u64_u32 v[10:11], null, s1, v44, v[4:5]
	v_mad_u64_u32 v[11:12], null, s0, v41, 0
	;; [unrolled: 1-line block ×3, first 2 shown]
	v_mov_b32_e32 v2, v9
	s_add_u32 s8, s12, s8
	v_mov_b32_e32 v4, v10
	s_addc_u32 s9, s13, s9
	v_mov_b32_e32 v9, v12
	v_lshlrev_b64 v[1:2], 3, v[1:2]
	v_mov_b32_e32 v6, v13
	v_mad_u64_u32 v[13:14], null, s0, v40, 0
	v_lshlrev_b64 v[3:4], 3, v[3:4]
	v_mad_u64_u32 v[17:18], null, s0, v37, 0
	v_add_co_u32 v31, vcc_lo, s8, v1
	v_add_co_ci_u32_e32 v48, vcc_lo, s9, v2, vcc_lo
	v_mad_u64_u32 v[1:2], null, s1, v42, v[8:9]
	v_mad_u64_u32 v[9:10], null, s1, v41, v[9:10]
	v_lshlrev_b64 v[5:6], 3, v[5:6]
	v_add_co_u32 v2, vcc_lo, v31, v3
	v_add_co_ci_u32_e32 v3, vcc_lo, v48, v4, vcc_lo
	v_mov_b32_e32 v8, v1
	v_mov_b32_e32 v12, v9
	;; [unrolled: 1-line block ×3, first 2 shown]
	v_add_co_u32 v4, vcc_lo, v31, v5
	v_add_co_ci_u32_e32 v5, vcc_lo, v48, v6, vcc_lo
	v_lshlrev_b64 v[6:7], 3, v[7:8]
	v_lshlrev_b64 v[8:9], 3, v[11:12]
	v_mad_u64_u32 v[10:11], null, s1, v40, v[1:2]
	v_mad_u64_u32 v[11:12], null, s0, v39, 0
	v_add_co_u32 v6, vcc_lo, v31, v6
	v_add_co_ci_u32_e32 v7, vcc_lo, v48, v7, vcc_lo
	v_add_co_u32 v8, vcc_lo, v31, v8
	v_mov_b32_e32 v1, v12
	v_add_co_ci_u32_e32 v9, vcc_lo, v48, v9, vcc_lo
	v_mov_b32_e32 v14, v10
	v_mov_b32_e32 v10, v18
	v_mad_u64_u32 v[19:20], null, s1, v39, v[1:2]
	s_clause 0x3
	global_load_dwordx2 v[1:2], v[2:3], off
	global_load_dwordx2 v[3:4], v[4:5], off
	;; [unrolled: 1-line block ×4, first 2 shown]
	v_mov_b32_e32 v9, v16
	v_lshlrev_b64 v[13:14], 3, v[13:14]
	v_mad_u64_u32 v[21:22], null, s0, v35, 0
	v_mad_u64_u32 v[26:27], null, s0, v34, 0
	v_mov_b32_e32 v12, v19
	v_mad_u64_u32 v[18:19], null, s1, v38, v[9:10]
	v_mad_u64_u32 v[9:10], null, s1, v37, v[10:11]
	v_lshlrev_b64 v[10:11], 3, v[11:12]
	v_mad_u64_u32 v[19:20], null, s0, v36, 0
	v_add_co_u32 v13, vcc_lo, v31, v13
	v_mov_b32_e32 v16, v18
	v_mov_b32_e32 v18, v9
	v_add_co_ci_u32_e32 v14, vcc_lo, v48, v14, vcc_lo
	v_add_co_u32 v9, vcc_lo, v31, v10
	v_add_co_ci_u32_e32 v10, vcc_lo, v48, v11, vcc_lo
	v_lshlrev_b64 v[11:12], 3, v[15:16]
	v_lshlrev_b64 v[16:17], 3, v[17:18]
	v_mov_b32_e32 v15, v20
	v_add_co_u32 v11, vcc_lo, v31, v11
	v_mad_u64_u32 v[23:24], null, s1, v36, v[15:16]
	v_mad_u64_u32 v[24:25], null, s0, v33, 0
	v_add_co_ci_u32_e32 v12, vcc_lo, v48, v12, vcc_lo
	v_mov_b32_e32 v15, v22
	v_add_co_u32 v16, vcc_lo, v31, v16
	v_mov_b32_e32 v20, v23
	v_mov_b32_e32 v18, v25
	v_add_co_ci_u32_e32 v17, vcc_lo, v48, v17, vcc_lo
	v_mad_u64_u32 v[22:23], null, s1, v35, v[15:16]
	v_mad_u64_u32 v[28:29], null, s1, v33, v[18:19]
	;; [unrolled: 1-line block ×3, first 2 shown]
	v_lshlrev_b64 v[18:19], 3, v[19:20]
	s_clause 0x3
	global_load_dwordx2 v[13:14], v[13:14], off
	global_load_dwordx2 v[9:10], v[9:10], off
	;; [unrolled: 1-line block ×4, first 2 shown]
	v_mov_b32_e32 v17, v27
	v_lshlrev_b64 v[20:21], 3, v[21:22]
	v_mov_b32_e32 v25, v28
	v_mad_u64_u32 v[27:28], null, s1, v34, v[17:18]
	v_mov_b32_e32 v17, v30
	v_add_co_u32 v18, vcc_lo, v31, v18
	v_add_co_ci_u32_e32 v19, vcc_lo, v48, v19, vcc_lo
	v_add_co_u32 v20, vcc_lo, v31, v20
	v_mad_u64_u32 v[22:23], null, s1, v32, v[17:18]
	v_lshlrev_b64 v[23:24], 3, v[24:25]
	v_lshlrev_b64 v[25:26], 3, v[26:27]
	v_add_co_ci_u32_e32 v21, vcc_lo, v48, v21, vcc_lo
	v_mov_b32_e32 v30, v22
	v_add_co_u32 v22, vcc_lo, v31, v23
	v_add_co_ci_u32_e32 v23, vcc_lo, v48, v24, vcc_lo
	v_lshlrev_b64 v[27:28], 3, v[29:30]
	v_add_co_u32 v24, vcc_lo, v31, v25
	v_add_co_ci_u32_e32 v25, vcc_lo, v48, v26, vcc_lo
	v_add_co_u32 v26, vcc_lo, v31, v27
	v_add_co_ci_u32_e32 v27, vcc_lo, v48, v28, vcc_lo
	s_clause 0x4
	global_load_dwordx2 v[17:18], v[18:19], off
	global_load_dwordx2 v[19:20], v[20:21], off
	;; [unrolled: 1-line block ×5, first 2 shown]
	v_add3_u32 v27, 0, v47, v45
	s_waitcnt vmcnt(11)
	ds_write2_b64 v27, v[1:2], v[3:4] offset1:16
	s_waitcnt vmcnt(9)
	ds_write2_b64 v27, v[5:6], v[7:8] offset0:32 offset1:48
	s_waitcnt vmcnt(7)
	ds_write2_b64 v27, v[13:14], v[9:10] offset0:64 offset1:80
	;; [unrolled: 2-line block ×5, first 2 shown]
	s_waitcnt vmcnt(0)
	ds_write_b64 v27, v[25:26] offset:1536
.LBB0_14:
	s_or_b32 exec_lo, exec_lo, s7
	s_add_u32 s7, 0, 0x71c4fc00
	s_addc_u32 s8, 0, 0x7c
	s_mul_hi_u32 s10, s7, -9
	s_add_i32 s8, s8, 0x1c71c6a0
	s_sub_i32 s10, s10, s7
	s_mul_i32 s11, s8, -9
	s_mul_i32 s9, s7, -9
	s_add_i32 s10, s10, s11
	s_mul_hi_u32 s16, s8, s9
	s_mul_i32 s11, s8, s9
	s_mul_i32 s17, s7, s10
	s_mul_hi_u32 s9, s7, s9
	s_mul_hi_u32 s18, s7, s10
	s_add_u32 s9, s9, s17
	s_addc_u32 s17, 0, s18
	s_mul_hi_u32 s18, s8, s10
	s_add_u32 s9, s9, s11
	s_addc_u32 s9, s17, s16
	s_mul_i32 s10, s8, s10
	v_lshrrev_b32_e32 v1, 4, v0
	s_addc_u32 s11, s18, 0
	s_add_u32 s9, s9, s10
	v_and_b32_e32 v50, 15, v0
	v_add_co_u32 v3, s7, s7, s9
	s_addc_u32 s9, 0, s11
	s_cmp_lg_u32 s7, 0
	v_add_co_u32 v5, s7, s34, v1
	v_add_co_ci_u32_e64 v6, null, s33, 0, s7
	s_addc_u32 s7, s8, s9
	v_mul_hi_u32 v7, v5, v3
	v_mad_u64_u32 v[1:2], null, v5, s7, 0
	v_mad_u64_u32 v[3:4], null, v6, v3, 0
	s_waitcnt lgkmcnt(0)
	s_barrier
	buffer_gl0_inv
	v_add_co_u32 v7, vcc_lo, v7, v1
	v_add_co_ci_u32_e32 v8, vcc_lo, 0, v2, vcc_lo
	v_mad_u64_u32 v[1:2], null, v6, s7, 0
	v_add_co_u32 v3, vcc_lo, v7, v3
	v_add_co_ci_u32_e32 v3, vcc_lo, v8, v4, vcc_lo
	v_add_co_ci_u32_e32 v2, vcc_lo, 0, v2, vcc_lo
	v_add_co_u32 v1, vcc_lo, v3, v1
	v_add_co_ci_u32_e32 v3, vcc_lo, 0, v2, vcc_lo
	v_mad_u64_u32 v[1:2], null, v1, 9, 0
	v_mad_u64_u32 v[2:3], null, v3, 9, v[2:3]
	v_sub_co_u32 v1, vcc_lo, v5, v1
	v_sub_co_ci_u32_e32 v2, vcc_lo, v6, v2, vcc_lo
	v_sub_co_u32 v3, vcc_lo, v1, 9
	v_subrev_co_ci_u32_e32 v4, vcc_lo, 0, v2, vcc_lo
	v_cmp_lt_u32_e32 vcc_lo, 8, v3
	v_cndmask_b32_e64 v5, 0, -1, vcc_lo
	v_cmp_lt_u32_e32 vcc_lo, 8, v1
	v_cndmask_b32_e64 v6, 0, -1, vcc_lo
	v_cmp_eq_u32_e32 vcc_lo, 0, v4
	v_cndmask_b32_e32 v4, -1, v5, vcc_lo
	v_cmp_eq_u32_e32 vcc_lo, 0, v2
	v_add_nc_u32_e32 v5, -9, v3
	v_cndmask_b32_e32 v2, -1, v6, vcc_lo
	v_cmp_ne_u32_e32 vcc_lo, 0, v4
	v_cndmask_b32_e32 v3, v3, v5, vcc_lo
	v_cmp_ne_u32_e32 vcc_lo, 0, v2
	v_cndmask_b32_e32 v1, v1, v3, vcc_lo
	v_cmp_gt_u32_e32 vcc_lo, 13, v50
	v_mul_u32_u24_e32 v0, 0xd0, v1
	v_lshlrev_b32_e32 v1, 3, v50
	v_lshlrev_b32_e32 v0, 3, v0
	v_add_nc_u32_e32 v27, 0, v0
	v_add3_u32 v48, 0, v1, v0
	ds_read2_b64 v[8:11], v48 offset0:16 offset1:32
	ds_read2_b64 v[12:15], v48 offset0:176 offset1:192
	v_add_nc_u32_e32 v49, v27, v1
	ds_read_b64 v[24:25], v49
	ds_read2_b64 v[16:19], v48 offset0:48 offset1:64
	ds_read2_b64 v[0:3], v48 offset0:80 offset1:96
	;; [unrolled: 1-line block ×4, first 2 shown]
	s_waitcnt lgkmcnt(0)
	s_barrier
	buffer_gl0_inv
	v_add_f32_e32 v26, v14, v8
	v_add_f32_e32 v28, v15, v9
	v_sub_f32_e32 v29, v8, v14
	v_sub_f32_e32 v30, v9, v15
	v_add_f32_e32 v8, v24, v8
	v_add_f32_e32 v9, v25, v9
	v_add_f32_e32 v51, v13, v11
	v_sub_f32_e32 v53, v11, v13
	v_mul_f32_e32 v54, 0xbeedf032, v30
	v_add_f32_e32 v8, v8, v10
	v_add_f32_e32 v9, v9, v11
	v_mul_f32_e32 v55, 0x3f62ad3f, v28
	v_mul_f32_e32 v56, 0xbf52af12, v30
	v_mul_f32_e32 v57, 0x3f116cb1, v28
	v_add_f32_e32 v8, v8, v16
	v_add_f32_e32 v9, v9, v17
	v_mul_f32_e32 v58, 0xbf7e222b, v30
	v_mul_f32_e32 v59, 0x3df6dbef, v28
	;; [unrolled: 5-line block ×4, first 2 shown]
	v_add_f32_e32 v31, v12, v10
	v_add_f32_e32 v8, v8, v2
	;; [unrolled: 1-line block ×3, first 2 shown]
	v_sub_f32_e32 v52, v10, v12
	v_mul_f32_e32 v64, 0xbf52af12, v53
	v_mul_f32_e32 v65, 0x3f116cb1, v51
	v_add_f32_e32 v8, v8, v4
	v_add_f32_e32 v9, v9, v5
	v_fmamk_f32 v10, v26, 0x3f62ad3f, v54
	v_fmamk_f32 v11, v29, 0x3eedf032, v55
	v_fma_f32 v54, 0x3f62ad3f, v26, -v54
	v_add_f32_e32 v8, v8, v6
	v_add_f32_e32 v9, v9, v7
	v_fmac_f32_e32 v55, 0xbeedf032, v29
	v_fmamk_f32 v66, v26, 0x3f116cb1, v56
	v_fmamk_f32 v67, v29, 0x3f52af12, v57
	v_add_f32_e32 v8, v8, v20
	v_add_f32_e32 v9, v9, v21
	v_fma_f32 v56, 0x3f116cb1, v26, -v56
	v_fmac_f32_e32 v57, 0xbf52af12, v29
	v_fmamk_f32 v68, v26, 0x3df6dbef, v58
	v_add_f32_e32 v8, v8, v22
	v_add_f32_e32 v9, v9, v23
	v_fmamk_f32 v69, v29, 0x3f7e222b, v59
	v_fma_f32 v58, 0x3df6dbef, v26, -v58
	v_fmac_f32_e32 v59, 0xbf7e222b, v29
	v_fmamk_f32 v70, v26, 0xbeb58ec6, v60
	v_fmamk_f32 v71, v29, 0x3f6f5d39, v61
	v_fma_f32 v60, 0xbeb58ec6, v26, -v60
	v_fmac_f32_e32 v61, 0xbf6f5d39, v29
	v_fmamk_f32 v72, v26, 0xbf3f9e67, v62
	;; [unrolled: 4-line block ×3, first 2 shown]
	v_fmamk_f32 v75, v29, 0x3e750f2a, v28
	v_fma_f32 v26, 0xbf788fa5, v26, -v30
	v_fmac_f32_e32 v28, 0xbe750f2a, v29
	v_add_f32_e32 v8, v8, v12
	v_add_f32_e32 v9, v9, v13
	v_fmamk_f32 v29, v31, 0x3f116cb1, v64
	v_add_f32_e32 v10, v24, v10
	v_add_f32_e32 v11, v25, v11
	;; [unrolled: 1-line block ×26, first 2 shown]
	v_mul_f32_e32 v14, 0xbf6f5d39, v53
	v_fmamk_f32 v15, v52, 0x3f52af12, v65
	v_fma_f32 v25, 0x3f116cb1, v31, -v64
	v_fmac_f32_e32 v65, 0xbf52af12, v52
	v_mul_f32_e32 v26, 0xbeb58ec6, v51
	v_add_f32_e32 v10, v29, v10
	v_fmamk_f32 v28, v31, 0xbeb58ec6, v14
	v_add_f32_e32 v11, v15, v11
	v_add_f32_e32 v15, v25, v30
	v_add_f32_e32 v25, v65, v54
	v_fmamk_f32 v29, v52, 0x3f6f5d39, v26
	v_fma_f32 v14, 0xbeb58ec6, v31, -v14
	v_fmac_f32_e32 v26, 0xbf6f5d39, v52
	v_mul_f32_e32 v54, 0xbf788fa5, v51
	v_mul_f32_e32 v30, 0xbe750f2a, v53
	v_add_f32_e32 v28, v28, v55
	v_add_f32_e32 v14, v14, v56
	;; [unrolled: 1-line block ×3, first 2 shown]
	v_mul_f32_e32 v56, 0x3f29c268, v53
	v_fmamk_f32 v57, v52, 0x3e750f2a, v54
	v_fmac_f32_e32 v54, 0xbe750f2a, v52
	v_fmamk_f32 v55, v31, 0xbf788fa5, v30
	v_fma_f32 v30, 0xbf788fa5, v31, -v30
	v_fmamk_f32 v64, v31, 0xbf3f9e67, v56
	v_mul_f32_e32 v65, 0xbf3f9e67, v51
	v_add_f32_e32 v54, v54, v59
	v_mul_f32_e32 v59, 0x3f7e222b, v53
	v_add_f32_e32 v29, v29, v66
	v_add_f32_e32 v55, v55, v67
	;; [unrolled: 1-line block ×4, first 2 shown]
	v_fmamk_f32 v64, v52, 0xbf29c268, v65
	v_fma_f32 v56, 0xbf3f9e67, v31, -v56
	v_mul_f32_e32 v66, 0x3df6dbef, v51
	v_fmac_f32_e32 v65, 0x3f29c268, v52
	v_fmamk_f32 v67, v31, 0x3df6dbef, v59
	v_mul_f32_e32 v53, 0x3eedf032, v53
	v_fma_f32 v59, 0x3df6dbef, v31, -v59
	v_add_f32_e32 v56, v56, v60
	v_fmamk_f32 v60, v52, 0xbf7e222b, v66
	v_add_f32_e32 v61, v65, v61
	v_add_f32_e32 v65, v67, v71
	v_fmac_f32_e32 v66, 0x3f7e222b, v52
	v_fmamk_f32 v67, v31, 0x3f62ad3f, v53
	v_add_f32_e32 v59, v59, v62
	v_sub_f32_e32 v62, v17, v23
	v_mul_f32_e32 v51, 0x3f62ad3f, v51
	v_add_f32_e32 v63, v66, v63
	v_add_f32_e32 v66, v67, v73
	;; [unrolled: 1-line block ×3, first 2 shown]
	v_mul_f32_e32 v69, 0xbf7e222b, v62
	v_add_f32_e32 v17, v23, v17
	v_add_f32_e32 v57, v57, v68
	v_fmamk_f32 v68, v52, 0xbeedf032, v51
	v_fma_f32 v23, 0x3f62ad3f, v31, -v53
	v_fmac_f32_e32 v51, 0x3eedf032, v52
	v_fmamk_f32 v31, v67, 0x3df6dbef, v69
	v_sub_f32_e32 v16, v16, v22
	v_mul_f32_e32 v22, 0x3df6dbef, v17
	v_add_f32_e32 v13, v23, v13
	v_add_f32_e32 v23, v51, v24
	;; [unrolled: 1-line block ×3, first 2 shown]
	v_mul_f32_e32 v24, 0xbe750f2a, v62
	v_fmamk_f32 v31, v16, 0x3f7e222b, v22
	v_fmac_f32_e32 v22, 0xbf7e222b, v16
	v_mul_f32_e32 v52, 0xbf788fa5, v17
	v_fma_f32 v51, 0x3df6dbef, v67, -v69
	v_fmamk_f32 v53, v67, 0xbf788fa5, v24
	v_fma_f32 v24, 0xbf788fa5, v67, -v24
	v_add_f32_e32 v22, v22, v25
	v_fmamk_f32 v25, v16, 0x3e750f2a, v52
	v_fmac_f32_e32 v52, 0xbe750f2a, v16
	v_add_f32_e32 v11, v31, v11
	v_mul_f32_e32 v31, 0x3f6f5d39, v62
	v_add_f32_e32 v14, v24, v14
	v_add_f32_e32 v15, v51, v15
	;; [unrolled: 1-line block ×3, first 2 shown]
	v_mul_f32_e32 v26, 0x3eedf032, v62
	v_add_f32_e32 v28, v53, v28
	v_add_f32_e32 v25, v25, v29
	v_mul_f32_e32 v29, 0xbeb58ec6, v17
	v_fmamk_f32 v51, v67, 0xbeb58ec6, v31
	v_fma_f32 v31, 0xbeb58ec6, v67, -v31
	v_fmamk_f32 v53, v67, 0x3f62ad3f, v26
	v_fma_f32 v26, 0x3f62ad3f, v67, -v26
	v_fmamk_f32 v52, v16, 0xbf6f5d39, v29
	v_add_f32_e32 v51, v51, v55
	v_fmac_f32_e32 v29, 0x3f6f5d39, v16
	v_mul_f32_e32 v55, 0x3f62ad3f, v17
	v_add_f32_e32 v30, v31, v30
	v_add_f32_e32 v31, v53, v58
	v_mul_f32_e32 v53, 0xbf52af12, v62
	v_add_f32_e32 v52, v52, v57
	v_add_f32_e32 v29, v29, v54
	v_fmamk_f32 v54, v16, 0xbeedf032, v55
	v_mul_f32_e32 v57, 0x3f116cb1, v17
	v_fmac_f32_e32 v55, 0x3eedf032, v16
	v_fmamk_f32 v58, v67, 0x3f116cb1, v53
	v_fma_f32 v53, 0x3f116cb1, v67, -v53
	v_add_f32_e32 v64, v64, v70
	v_add_f32_e32 v26, v26, v56
	v_fmamk_f32 v56, v16, 0x3f52af12, v57
	v_add_f32_e32 v55, v55, v61
	v_mul_f32_e32 v61, 0xbf29c268, v62
	v_fmac_f32_e32 v57, 0xbf52af12, v16
	v_add_f32_e32 v53, v53, v59
	v_sub_f32_e32 v59, v19, v21
	v_add_f32_e32 v19, v21, v19
	v_add_f32_e32 v60, v60, v72
	;; [unrolled: 1-line block ×3, first 2 shown]
	v_mul_f32_e32 v17, 0xbf3f9e67, v17
	v_add_f32_e32 v57, v57, v63
	v_add_f32_e32 v63, v20, v18
	v_mul_f32_e32 v64, 0xbf6f5d39, v59
	v_fma_f32 v21, 0xbf3f9e67, v67, -v61
	v_sub_f32_e32 v18, v18, v20
	v_mul_f32_e32 v20, 0xbeb58ec6, v19
	v_add_f32_e32 v56, v56, v60
	v_fmamk_f32 v60, v67, 0xbf3f9e67, v61
	v_fmamk_f32 v62, v16, 0x3f29c268, v17
	v_fmac_f32_e32 v17, 0xbf29c268, v16
	v_fmamk_f32 v16, v63, 0xbeb58ec6, v64
	v_add_f32_e32 v13, v21, v13
	v_fmamk_f32 v21, v18, 0x3f6f5d39, v20
	v_mul_f32_e32 v61, 0xbf3f9e67, v19
	v_add_f32_e32 v12, v68, v12
	v_add_f32_e32 v17, v17, v23
	;; [unrolled: 1-line block ×3, first 2 shown]
	v_mul_f32_e32 v16, 0x3f29c268, v59
	v_fma_f32 v23, 0xbeb58ec6, v63, -v64
	v_add_f32_e32 v11, v21, v11
	v_fmamk_f32 v21, v18, 0xbf29c268, v61
	v_add_f32_e32 v12, v62, v12
	v_fmac_f32_e32 v20, 0xbf6f5d39, v18
	v_fmamk_f32 v62, v63, 0xbf3f9e67, v16
	v_add_f32_e32 v15, v23, v15
	v_mul_f32_e32 v23, 0x3eedf032, v59
	v_fma_f32 v16, 0xbf3f9e67, v63, -v16
	v_fmac_f32_e32 v61, 0x3f29c268, v18
	v_add_f32_e32 v21, v21, v25
	v_mul_f32_e32 v25, 0x3f62ad3f, v19
	v_add_f32_e32 v20, v20, v22
	v_add_f32_e32 v22, v62, v28
	v_fmamk_f32 v28, v63, 0x3f62ad3f, v23
	v_add_f32_e32 v14, v16, v14
	v_add_f32_e32 v16, v61, v24
	v_mul_f32_e32 v24, 0xbf7e222b, v59
	v_fmamk_f32 v61, v18, 0xbeedf032, v25
	v_fma_f32 v23, 0x3f62ad3f, v63, -v23
	v_add_f32_e32 v28, v28, v51
	v_fmac_f32_e32 v25, 0x3eedf032, v18
	v_fmamk_f32 v51, v63, 0x3df6dbef, v24
	v_add_f32_e32 v52, v61, v52
	v_mul_f32_e32 v61, 0x3df6dbef, v19
	v_add_f32_e32 v23, v23, v30
	v_mul_f32_e32 v30, 0x3e750f2a, v59
	v_add_f32_e32 v58, v58, v65
	v_add_f32_e32 v25, v25, v29
	;; [unrolled: 1-line block ×3, first 2 shown]
	v_fmamk_f32 v31, v18, 0x3f7e222b, v61
	v_fma_f32 v24, 0x3df6dbef, v63, -v24
	v_mul_f32_e32 v51, 0xbf788fa5, v19
	v_fmac_f32_e32 v61, 0xbf7e222b, v18
	v_fmamk_f32 v62, v63, 0xbf788fa5, v30
	v_add_f32_e32 v31, v31, v54
	v_add_f32_e32 v24, v24, v26
	v_fmamk_f32 v26, v18, 0xbe750f2a, v51
	v_add_f32_e32 v54, v61, v55
	v_add_f32_e32 v55, v62, v58
	v_mul_f32_e32 v58, 0x3f52af12, v59
	v_fma_f32 v30, 0xbf788fa5, v63, -v30
	v_add_f32_e32 v60, v60, v66
	v_add_f32_e32 v26, v26, v56
	v_fmac_f32_e32 v51, 0x3e750f2a, v18
	v_fmamk_f32 v56, v63, 0x3f116cb1, v58
	v_add_f32_e32 v30, v30, v53
	v_sub_f32_e32 v53, v1, v7
	v_mul_f32_e32 v19, 0x3f116cb1, v19
	v_add_f32_e32 v51, v51, v57
	v_add_f32_e32 v56, v56, v60
	;; [unrolled: 1-line block ×3, first 2 shown]
	v_mul_f32_e32 v60, 0xbf29c268, v53
	v_add_f32_e32 v1, v7, v1
	v_fmamk_f32 v59, v18, 0xbf52af12, v19
	v_fmac_f32_e32 v19, 0x3f52af12, v18
	v_sub_f32_e32 v0, v0, v6
	v_fmamk_f32 v18, v57, 0xbf3f9e67, v60
	v_mul_f32_e32 v6, 0xbf3f9e67, v1
	v_fma_f32 v7, 0x3f116cb1, v63, -v58
	v_mul_f32_e32 v58, 0x3df6dbef, v1
	v_add_f32_e32 v12, v59, v12
	v_add_f32_e32 v10, v18, v10
	v_fmamk_f32 v18, v0, 0x3f29c268, v6
	v_add_f32_e32 v7, v7, v13
	v_add_f32_e32 v13, v19, v17
	v_mul_f32_e32 v17, 0x3f7e222b, v53
	v_fmac_f32_e32 v6, 0xbf29c268, v0
	v_add_f32_e32 v11, v18, v11
	v_fmamk_f32 v18, v0, 0xbf7e222b, v58
	v_fma_f32 v19, 0xbf3f9e67, v57, -v60
	v_fmamk_f32 v59, v57, 0x3df6dbef, v17
	v_add_f32_e32 v6, v6, v20
	v_mul_f32_e32 v20, 0xbf52af12, v53
	v_fma_f32 v17, 0x3df6dbef, v57, -v17
	v_fmac_f32_e32 v58, 0x3f7e222b, v0
	v_add_f32_e32 v21, v18, v21
	v_mul_f32_e32 v18, 0x3f116cb1, v1
	v_add_f32_e32 v15, v19, v15
	v_add_f32_e32 v19, v59, v22
	v_fmamk_f32 v22, v57, 0x3f116cb1, v20
	v_add_f32_e32 v14, v17, v14
	v_add_f32_e32 v17, v58, v16
	v_mul_f32_e32 v16, 0x3e750f2a, v53
	v_fmamk_f32 v58, v0, 0x3f52af12, v18
	v_add_f32_e32 v22, v22, v28
	v_fma_f32 v20, 0x3f116cb1, v57, -v20
	v_fmac_f32_e32 v18, 0xbf52af12, v0
	v_fmamk_f32 v28, v57, 0xbf788fa5, v16
	v_add_f32_e32 v52, v58, v52
	v_mul_f32_e32 v58, 0xbf788fa5, v1
	v_add_f32_e32 v20, v20, v23
	v_fma_f32 v16, 0xbf788fa5, v57, -v16
	v_add_f32_e32 v28, v28, v29
	v_mul_f32_e32 v29, 0x3f62ad3f, v1
	v_fmamk_f32 v23, v0, 0xbe750f2a, v58
	v_add_f32_e32 v25, v18, v25
	v_mul_f32_e32 v18, 0x3eedf032, v53
	v_add_f32_e32 v24, v16, v24
	v_fmamk_f32 v16, v0, 0xbeedf032, v29
	v_add_f32_e32 v31, v23, v31
	v_mul_f32_e32 v23, 0xbf6f5d39, v53
	v_fmamk_f32 v59, v57, 0x3f62ad3f, v18
	v_fma_f32 v18, 0x3f62ad3f, v57, -v18
	v_add_f32_e32 v26, v16, v26
	v_mul_f32_e32 v1, 0xbeb58ec6, v1
	v_fmac_f32_e32 v29, 0x3eedf032, v0
	v_fmamk_f32 v16, v57, 0xbeb58ec6, v23
	v_sub_f32_e32 v53, v3, v5
	v_fmac_f32_e32 v58, 0x3e750f2a, v0
	v_add_f32_e32 v30, v18, v30
	v_fmamk_f32 v18, v0, 0x3f6f5d39, v1
	v_add_f32_e32 v29, v29, v51
	v_add_f32_e32 v51, v16, v56
	;; [unrolled: 1-line block ×3, first 2 shown]
	v_mul_f32_e32 v16, 0xbe750f2a, v53
	v_add_f32_e32 v5, v5, v3
	v_add_f32_e32 v54, v58, v54
	;; [unrolled: 1-line block ×3, first 2 shown]
	v_fmac_f32_e32 v1, 0xbf6f5d39, v0
	v_fmamk_f32 v0, v56, 0xbf788fa5, v16
	v_sub_f32_e32 v4, v2, v4
	v_mul_f32_e32 v12, 0xbf788fa5, v5
	v_fma_f32 v3, 0xbeb58ec6, v57, -v23
	v_add_f32_e32 v57, v1, v13
	v_add_f32_e32 v0, v0, v10
	v_mul_f32_e32 v10, 0x3eedf032, v53
	v_fmamk_f32 v1, v4, 0x3e750f2a, v12
	v_fmac_f32_e32 v12, 0xbe750f2a, v4
	v_mul_f32_e32 v13, 0x3f62ad3f, v5
	v_add_f32_e32 v7, v3, v7
	v_fma_f32 v2, 0xbf788fa5, v56, -v16
	v_fmamk_f32 v16, v56, 0x3f62ad3f, v10
	v_add_f32_e32 v3, v12, v6
	v_fmamk_f32 v6, v4, 0xbeedf032, v13
	v_add_f32_e32 v1, v1, v11
	v_mul_f32_e32 v11, 0xbf29c268, v53
	v_add_f32_e32 v18, v16, v19
	v_fma_f32 v10, 0x3f62ad3f, v56, -v10
	v_fmac_f32_e32 v13, 0x3eedf032, v4
	v_add_f32_e32 v19, v6, v21
	v_mul_f32_e32 v6, 0xbf3f9e67, v5
	v_fmamk_f32 v12, v56, 0xbf3f9e67, v11
	v_add_f32_e32 v16, v10, v14
	v_add_f32_e32 v17, v13, v17
	v_mul_f32_e32 v10, 0x3f52af12, v53
	v_fmamk_f32 v13, v4, 0x3f29c268, v6
	v_fma_f32 v11, 0xbf3f9e67, v56, -v11
	v_fmac_f32_e32 v6, 0xbf29c268, v4
	v_mul_f32_e32 v14, 0x3f116cb1, v5
	v_add_f32_e32 v2, v2, v15
	v_add_f32_e32 v22, v12, v22
	v_fmamk_f32 v12, v56, 0x3f116cb1, v10
	v_add_f32_e32 v20, v11, v20
	v_add_f32_e32 v21, v6, v25
	v_mul_f32_e32 v6, 0xbf6f5d39, v53
	v_fmamk_f32 v11, v4, 0xbf52af12, v14
	v_fmac_f32_e32 v14, 0x3f52af12, v4
	v_mul_f32_e32 v15, 0xbeb58ec6, v5
	v_add_f32_e32 v55, v59, v55
	v_add_f32_e32 v23, v13, v52
	;; [unrolled: 1-line block ×3, first 2 shown]
	v_fma_f32 v10, 0x3f116cb1, v56, -v10
	v_fmamk_f32 v25, v56, 0xbeb58ec6, v6
	v_add_f32_e32 v13, v11, v31
	v_add_f32_e32 v11, v14, v54
	v_fmamk_f32 v14, v4, 0x3f6f5d39, v15
	v_fma_f32 v6, 0xbeb58ec6, v56, -v6
	v_mul_f32_e32 v28, 0x3f7e222b, v53
	v_mul_f32_e32 v5, 0x3df6dbef, v5
	v_add_f32_e32 v10, v10, v24
	v_add_f32_e32 v24, v25, v55
	;; [unrolled: 1-line block ×3, first 2 shown]
	v_fmac_f32_e32 v15, 0xbf6f5d39, v4
	v_add_f32_e32 v14, v6, v30
	v_fmamk_f32 v6, v56, 0x3df6dbef, v28
	v_fmamk_f32 v26, v4, 0xbf7e222b, v5
	v_fma_f32 v30, 0x3df6dbef, v56, -v28
	v_fmac_f32_e32 v5, 0x3f7e222b, v4
	v_add_f32_e32 v15, v15, v29
	v_add_f32_e32 v28, v6, v51
	;; [unrolled: 1-line block ×4, first 2 shown]
	v_mad_u32_u24 v4, 0x68, v50, v27
	v_add_f32_e32 v27, v5, v57
	ds_write2_b64 v4, v[8:9], v[0:1] offset1:1
	ds_write2_b64 v4, v[18:19], v[22:23] offset0:2 offset1:3
	ds_write2_b64 v4, v[12:13], v[24:25] offset0:4 offset1:5
	;; [unrolled: 1-line block ×5, first 2 shown]
	ds_write_b64 v4, v[2:3] offset:96
	s_waitcnt lgkmcnt(0)
	s_barrier
	buffer_gl0_inv
                                        ; implicit-def: $vgpr5
                                        ; implicit-def: $vgpr31
	s_and_saveexec_b32 s7, vcc_lo
	s_cbranch_execz .LBB0_16
; %bb.15:
	ds_read2_b64 v[12:15], v48 offset0:91 offset1:104
	ds_read2_b64 v[16:19], v48 offset0:117 offset1:130
	;; [unrolled: 1-line block ×7, first 2 shown]
	ds_read_b64 v[8:9], v49
	ds_read_b64 v[30:31], v48 offset:1560
	s_waitcnt lgkmcnt(8)
	v_mov_b32_e32 v27, v13
	s_waitcnt lgkmcnt(7)
	v_mov_b32_e32 v11, v17
	v_mov_b32_e32 v10, v16
	;; [unrolled: 1-line block ×4, first 2 shown]
	s_waitcnt lgkmcnt(6)
	v_mov_b32_e32 v17, v1
	v_mov_b32_e32 v16, v0
	v_mov_b32_e32 v26, v12
	s_waitcnt lgkmcnt(5)
	v_mov_b32_e32 v29, v25
	v_mov_b32_e32 v28, v24
	v_mov_b32_e32 v25, v23
	v_mov_b32_e32 v24, v22
	s_waitcnt lgkmcnt(4)
	v_mov_b32_e32 v13, v54
	;; [unrolled: 5-line block ×3, first 2 shown]
	v_mov_b32_e32 v18, v57
	v_mov_b32_e32 v1, v56
	;; [unrolled: 1-line block ×3, first 2 shown]
.LBB0_16:
	s_or_b32 exec_lo, exec_lo, s7
	s_waitcnt lgkmcnt(0)
	s_barrier
	buffer_gl0_inv
	s_and_saveexec_b32 s7, vcc_lo
	s_cbranch_execz .LBB0_18
; %bb.17:
	v_add_nc_u32_e32 v51, -13, v50
	v_cndmask_b32_e32 v50, v51, v50, vcc_lo
	v_mov_b32_e32 v51, 0
	v_mul_i32_i24_e32 v50, 15, v50
	v_lshlrev_b64 v[50:51], 3, v[50:51]
	v_add_co_u32 v78, vcc_lo, s14, v50
	v_add_co_ci_u32_e32 v79, vcc_lo, s15, v51, vcc_lo
	s_clause 0x7
	global_load_dwordx4 v[50:53], v[78:79], off
	global_load_dwordx4 v[54:57], v[78:79], off offset:64
	global_load_dwordx4 v[58:61], v[78:79], off offset:32
	;; [unrolled: 1-line block ×6, first 2 shown]
	global_load_dwordx2 v[78:79], v[78:79], off offset:112
	s_waitcnt vmcnt(7)
	v_mul_f32_e32 v80, v18, v53
	s_waitcnt vmcnt(6)
	v_mul_f32_e32 v81, v20, v57
	;; [unrolled: 2-line block ×3, first 2 shown]
	v_mul_f32_e32 v61, v28, v61
	v_mul_f32_e32 v87, v25, v59
	v_mul_f32_e32 v59, v24, v59
	s_waitcnt vmcnt(4)
	v_mul_f32_e32 v83, v7, v65
	s_waitcnt vmcnt(3)
	v_mul_f32_e32 v84, v14, v69
	;; [unrolled: 2-line block ×4, first 2 shown]
	v_mul_f32_e32 v65, v6, v65
	v_mul_f32_e32 v53, v19, v53
	;; [unrolled: 1-line block ×3, first 2 shown]
	s_waitcnt vmcnt(0)
	v_mul_f32_e32 v88, v31, v79
	v_mul_f32_e32 v79, v30, v79
	;; [unrolled: 1-line block ×13, first 2 shown]
	v_fmac_f32_e32 v82, v28, v60
	v_fma_f32 v28, v29, v60, -v61
	v_mul_f32_e32 v29, v11, v55
	v_mul_f32_e32 v55, v12, v73
	v_fmac_f32_e32 v87, v24, v58
	v_fma_f32 v24, v25, v58, -v59
	v_mul_f32_e32 v25, v2, v77
	v_mul_f32_e32 v58, v15, v69
	v_fmac_f32_e32 v88, v30, v78
	v_fma_f32 v30, v31, v78, -v79
	v_fma_f32 v19, v19, v52, -v80
	v_fmac_f32_e32 v53, v18, v52
	v_fma_f32 v18, v21, v56, -v81
	v_fmac_f32_e32 v57, v20, v56
	v_fmac_f32_e32 v91, v26, v66
	v_fma_f32 v20, v27, v66, -v67
	v_fma_f32 v21, v23, v70, -v89
	v_fmac_f32_e32 v71, v22, v70
	v_fmac_f32_e32 v83, v6, v64
	v_fma_f32 v6, v15, v68, -v84
	v_fmac_f32_e32 v85, v12, v72
	v_fmac_f32_e32 v86, v2, v76
	v_fma_f32 v2, v7, v64, -v65
	v_fma_f32 v7, v17, v74, -v90
	;; [unrolled: 1-line block ×4, first 2 shown]
	v_fmac_f32_e32 v94, v4, v62
	v_fmac_f32_e32 v75, v16, v74
	v_fma_f32 v4, v5, v62, -v63
	v_fmac_f32_e32 v51, v0, v50
	v_fmac_f32_e32 v29, v10, v54
	v_fma_f32 v0, v13, v72, -v55
	v_fma_f32 v3, v3, v76, -v25
	v_fmac_f32_e32 v58, v14, v68
	v_sub_f32_e32 v5, v19, v18
	v_sub_f32_e32 v10, v82, v83
	;; [unrolled: 1-line block ×18, first 2 shown]
	v_add_f32_e32 v26, v13, v2
	v_sub_f32_e32 v27, v7, v14
	v_sub_f32_e32 v29, v11, v15
	v_add_f32_e32 v30, v17, v16
	v_add_f32_e32 v31, v18, v4
	;; [unrolled: 1-line block ×3, first 2 shown]
	v_fma_f32 v9, v9, 2.0, -v6
	v_fma_f32 v0, v0, 2.0, -v3
	;; [unrolled: 1-line block ×16, first 2 shown]
	v_fmamk_f32 v28, v23, 0x3f3504f3, v25
	v_fmamk_f32 v51, v27, 0x3f3504f3, v29
	;; [unrolled: 1-line block ×4, first 2 shown]
	v_sub_f32_e32 v54, v9, v0
	v_sub_f32_e32 v0, v3, v10
	;; [unrolled: 1-line block ×4, first 2 shown]
	v_fma_f32 v16, v6, 2.0, -v25
	v_fma_f32 v5, v5, 2.0, -v23
	;; [unrolled: 1-line block ×8, first 2 shown]
	v_sub_f32_e32 v4, v1, v4
	v_sub_f32_e32 v15, v20, v15
	;; [unrolled: 1-line block ×4, first 2 shown]
	v_fmac_f32_e32 v28, 0xbf3504f3, v26
	v_fmac_f32_e32 v51, 0xbf3504f3, v30
	;; [unrolled: 1-line block ×4, first 2 shown]
	v_fmamk_f32 v30, v5, 0xbf3504f3, v16
	v_fmamk_f32 v55, v7, 0xbf3504f3, v13
	v_fmamk_f32 v56, v11, 0xbf3504f3, v17
	v_fmamk_f32 v57, v6, 0xbf3504f3, v18
	v_sub_f32_e32 v23, v4, v10
	v_add_f32_e32 v26, v15, v14
	v_add_f32_e32 v27, v12, v2
	v_fma_f32 v58, v9, 2.0, -v54
	v_fma_f32 v9, v19, 2.0, -v2
	;; [unrolled: 1-line block ×8, first 2 shown]
	v_sub_f32_e32 v22, v54, v0
	v_fmamk_f32 v1, v51, 0x3f6c835e, v28
	v_fmamk_f32 v0, v52, 0x3f6c835e, v53
	v_fmac_f32_e32 v30, 0xbf3504f3, v6
	v_fmac_f32_e32 v55, 0xbf3504f3, v11
	;; [unrolled: 1-line block ×4, first 2 shown]
	v_fmamk_f32 v2, v26, 0x3f3504f3, v27
	v_sub_f32_e32 v21, v58, v9
	v_sub_f32_e32 v59, v19, v10
	;; [unrolled: 1-line block ×4, first 2 shown]
	v_fma_f32 v25, v25, 2.0, -v28
	v_fma_f32 v29, v29, 2.0, -v51
	;; [unrolled: 1-line block ×8, first 2 shown]
	v_fmac_f32_e32 v1, 0xbec3ef15, v52
	v_fmac_f32_e32 v0, 0x3ec3ef15, v51
	v_fma_f32 v51, v16, 2.0, -v30
	v_fma_f32 v52, v13, 2.0, -v55
	;; [unrolled: 1-line block ×4, first 2 shown]
	v_fmamk_f32 v3, v23, 0x3f3504f3, v22
	v_fmac_f32_e32 v2, 0x3f3504f3, v23
	v_sub_f32_e32 v7, v21, v59
	v_fma_f32 v58, v58, 2.0, -v21
	v_fma_f32 v23, v24, 2.0, -v14
	;; [unrolled: 1-line block ×4, first 2 shown]
	v_fmamk_f32 v9, v29, 0xbec3ef15, v25
	v_fmamk_f32 v8, v31, 0xbec3ef15, v50
	;; [unrolled: 1-line block ×8, first 2 shown]
	v_fma_f32 v17, v21, 2.0, -v7
	v_sub_f32_e32 v21, v58, v23
	v_sub_f32_e32 v20, v66, v20
	v_add_f32_e32 v6, v60, v14
	v_fmac_f32_e32 v9, 0xbf6c835e, v31
	v_fmac_f32_e32 v8, 0x3f6c835e, v29
	;; [unrolled: 1-line block ×5, first 2 shown]
	v_fma_f32 v13, v28, 2.0, -v1
	v_fma_f32 v12, v53, 2.0, -v0
	v_fmac_f32_e32 v11, 0xbf3504f3, v62
	v_fmac_f32_e32 v10, 0x3f3504f3, v61
	;; [unrolled: 1-line block ×4, first 2 shown]
	v_fma_f32 v29, v58, 2.0, -v21
	v_fma_f32 v28, v66, 2.0, -v20
	;; [unrolled: 1-line block ×11, first 2 shown]
	ds_write2_b64 v48, v[12:13], v[20:21] offset0:91 offset1:104
	ds_write2_b64 v48, v[8:9], v[6:7] offset0:143 offset1:156
	;; [unrolled: 1-line block ×3, first 2 shown]
	v_fma_f32 v3, v51, 2.0, -v19
	v_fma_f32 v2, v65, 2.0, -v18
	ds_write_b64 v49, v[28:29]
	ds_write2_b64 v48, v[24:25], v[16:17] offset0:39 offset1:52
	ds_write2_b64 v48, v[22:23], v[14:15] offset0:65 offset1:78
	;; [unrolled: 1-line block ×4, first 2 shown]
	ds_write_b64 v48, v[0:1] offset:1560
.LBB0_18:
	s_or_b32 exec_lo, exec_lo, s7
	s_waitcnt lgkmcnt(0)
	s_barrier
	buffer_gl0_inv
	s_and_saveexec_b32 s7, s6
	s_cbranch_execz .LBB0_20
; %bb.19:
	v_mad_u64_u32 v[4:5], null, s2, v46, 0
	v_mad_u64_u32 v[6:7], null, s0, v44, 0
	v_add3_u32 v18, 0, v47, v45
	v_mad_u64_u32 v[8:9], null, s0, v43, 0
	s_lshl_b64 s[4:5], s[4:5], 3
	v_mov_b32_e32 v0, v5
	s_add_u32 s2, s12, s4
	v_mov_b32_e32 v1, v7
	v_mad_u64_u32 v[2:3], null, s3, v46, v[0:1]
	s_addc_u32 s3, s13, s5
	v_mad_u64_u32 v[10:11], null, s1, v44, v[1:2]
	v_mad_u64_u32 v[11:12], null, s0, v42, 0
	v_mov_b32_e32 v5, v2
	ds_read2_b64 v[0:3], v18 offset1:16
	v_mov_b32_e32 v7, v10
	v_lshlrev_b64 v[4:5], 3, v[4:5]
	v_mov_b32_e32 v10, v12
	v_lshlrev_b64 v[6:7], 3, v[6:7]
	v_mad_u64_u32 v[12:13], null, s1, v43, v[9:10]
	v_add_co_u32 v20, vcc_lo, s2, v4
	v_add_co_ci_u32_e32 v21, vcc_lo, s3, v5, vcc_lo
	v_mad_u64_u32 v[4:5], null, s1, v42, v[10:11]
	v_add_co_u32 v5, vcc_lo, v20, v6
	v_add_co_ci_u32_e32 v6, vcc_lo, v21, v7, vcc_lo
	v_mad_u64_u32 v[13:14], null, s0, v41, 0
	v_mov_b32_e32 v9, v12
	s_waitcnt lgkmcnt(0)
	global_store_dwordx2 v[5:6], v[0:1], off
	v_mov_b32_e32 v12, v4
	ds_read2_b64 v[4:7], v18 offset0:32 offset1:48
	v_lshlrev_b64 v[0:1], 3, v[8:9]
	v_mad_u64_u32 v[9:10], null, s0, v40, 0
	v_mov_b32_e32 v8, v14
	v_lshlrev_b64 v[11:12], 3, v[11:12]
	v_add_co_u32 v0, vcc_lo, v20, v0
	v_add_co_ci_u32_e32 v1, vcc_lo, v21, v1, vcc_lo
	v_mad_u64_u32 v[14:15], null, s1, v41, v[8:9]
	v_mov_b32_e32 v8, v10
	v_add_co_u32 v10, vcc_lo, v20, v11
	v_add_co_ci_u32_e32 v11, vcc_lo, v21, v12, vcc_lo
	v_mad_u64_u32 v[15:16], null, s1, v40, v[8:9]
	v_mad_u64_u32 v[16:17], null, s0, v39, 0
	global_store_dwordx2 v[0:1], v[2:3], off
	s_waitcnt lgkmcnt(0)
	global_store_dwordx2 v[10:11], v[4:5], off
	ds_read2_b64 v[0:3], v18 offset0:64 offset1:80
	v_lshlrev_b64 v[4:5], 3, v[13:14]
	v_mad_u64_u32 v[11:12], null, s0, v38, 0
	v_mov_b32_e32 v10, v15
	v_mov_b32_e32 v8, v17
	v_add_co_u32 v4, vcc_lo, v20, v4
	v_lshlrev_b64 v[9:10], 3, v[9:10]
	v_add_co_ci_u32_e32 v5, vcc_lo, v21, v5, vcc_lo
	v_mad_u64_u32 v[13:14], null, s1, v39, v[8:9]
	v_mad_u64_u32 v[14:15], null, s0, v37, 0
	v_add_co_u32 v9, vcc_lo, v20, v9
	global_store_dwordx2 v[4:5], v[6:7], off
	v_add_co_ci_u32_e32 v10, vcc_lo, v21, v10, vcc_lo
	v_mov_b32_e32 v17, v13
	v_mov_b32_e32 v4, v15
                                        ; kill: def $vgpr5 killed $sgpr0 killed $exec
	v_mov_b32_e32 v8, v12
	s_waitcnt lgkmcnt(0)
	global_store_dwordx2 v[9:10], v[0:1], off
	v_lshlrev_b64 v[0:1], 3, v[16:17]
	v_mad_u64_u32 v[4:5], null, s1, v37, v[4:5]
	v_mad_u64_u32 v[12:13], null, s1, v38, v[8:9]
	;; [unrolled: 1-line block ×3, first 2 shown]
	v_add_co_u32 v0, vcc_lo, v20, v0
	v_mov_b32_e32 v15, v4
	ds_read2_b64 v[4:7], v18 offset0:96 offset1:112
	v_add_co_ci_u32_e32 v1, vcc_lo, v21, v1, vcc_lo
	v_lshlrev_b64 v[10:11], 3, v[11:12]
	v_mad_u64_u32 v[12:13], null, s0, v35, 0
	global_store_dwordx2 v[0:1], v[2:3], off
	v_mov_b32_e32 v2, v9
	v_lshlrev_b64 v[0:1], 3, v[14:15]
	v_add_co_u32 v10, vcc_lo, v20, v10
	v_add_co_ci_u32_e32 v11, vcc_lo, v21, v11, vcc_lo
	v_mad_u64_u32 v[2:3], null, s1, v36, v[2:3]
	v_add_co_u32 v0, vcc_lo, v20, v0
	v_add_co_ci_u32_e32 v1, vcc_lo, v21, v1, vcc_lo
	s_waitcnt lgkmcnt(0)
	global_store_dwordx2 v[10:11], v[4:5], off
	global_store_dwordx2 v[0:1], v[6:7], off
	v_mov_b32_e32 v9, v2
	ds_read2_b64 v[0:3], v18 offset0:128 offset1:144
	v_mov_b32_e32 v6, v13
	v_lshlrev_b64 v[4:5], 3, v[8:9]
	v_mad_u64_u32 v[7:8], null, s0, v33, 0
	v_mad_u64_u32 v[9:10], null, s0, v34, 0
	v_add_co_u32 v4, vcc_lo, v20, v4
	v_add_co_ci_u32_e32 v5, vcc_lo, v21, v5, vcc_lo
	v_mad_u64_u32 v[13:14], null, s1, v35, v[6:7]
	v_mov_b32_e32 v6, v8
	v_mad_u64_u32 v[14:15], null, s0, v32, 0
	v_mov_b32_e32 v8, v10
	s_waitcnt lgkmcnt(0)
	global_store_dwordx2 v[4:5], v[0:1], off
	v_mad_u64_u32 v[10:11], null, s1, v33, v[6:7]
	v_lshlrev_b64 v[4:5], 3, v[12:13]
	v_mad_u64_u32 v[16:17], null, s1, v34, v[8:9]
	v_mov_b32_e32 v0, v15
	v_mov_b32_e32 v8, v10
	v_add_co_u32 v11, vcc_lo, v20, v4
	v_mad_u64_u32 v[0:1], null, s1, v32, v[0:1]
	v_mov_b32_e32 v10, v16
	v_add_co_ci_u32_e32 v12, vcc_lo, v21, v5, vcc_lo
	v_lshlrev_b64 v[16:17], 3, v[7:8]
	ds_read2_b64 v[4:7], v18 offset0:160 offset1:176
	ds_read_b64 v[18:19], v18 offset:1536
	v_mov_b32_e32 v15, v0
	v_lshlrev_b64 v[8:9], 3, v[9:10]
	v_add_co_u32 v0, vcc_lo, v20, v16
	v_lshlrev_b64 v[13:14], 3, v[14:15]
	v_add_co_ci_u32_e32 v1, vcc_lo, v21, v17, vcc_lo
	v_add_co_u32 v8, vcc_lo, v20, v8
	v_add_co_ci_u32_e32 v9, vcc_lo, v21, v9, vcc_lo
	v_add_co_u32 v13, vcc_lo, v20, v13
	v_add_co_ci_u32_e32 v14, vcc_lo, v21, v14, vcc_lo
	global_store_dwordx2 v[11:12], v[2:3], off
	s_waitcnt lgkmcnt(1)
	global_store_dwordx2 v[0:1], v[4:5], off
	global_store_dwordx2 v[8:9], v[6:7], off
	s_waitcnt lgkmcnt(0)
	global_store_dwordx2 v[13:14], v[18:19], off
.LBB0_20:
	s_endpgm
	.section	.rodata,"a",@progbits
	.p2align	6, 0x0
	.amdhsa_kernel fft_rtc_back_len208_factors_13_16_wgs_144_tpt_16_sp_ip_CI_sbcc
		.amdhsa_group_segment_fixed_size 0
		.amdhsa_private_segment_fixed_size 0
		.amdhsa_kernarg_size 96
		.amdhsa_user_sgpr_count 6
		.amdhsa_user_sgpr_private_segment_buffer 1
		.amdhsa_user_sgpr_dispatch_ptr 0
		.amdhsa_user_sgpr_queue_ptr 0
		.amdhsa_user_sgpr_kernarg_segment_ptr 1
		.amdhsa_user_sgpr_dispatch_id 0
		.amdhsa_user_sgpr_flat_scratch_init 0
		.amdhsa_user_sgpr_private_segment_size 0
		.amdhsa_wavefront_size32 1
		.amdhsa_uses_dynamic_stack 0
		.amdhsa_system_sgpr_private_segment_wavefront_offset 0
		.amdhsa_system_sgpr_workgroup_id_x 1
		.amdhsa_system_sgpr_workgroup_id_y 0
		.amdhsa_system_sgpr_workgroup_id_z 0
		.amdhsa_system_sgpr_workgroup_info 0
		.amdhsa_system_vgpr_workitem_id 0
		.amdhsa_next_free_vgpr 95
		.amdhsa_next_free_sgpr 44
		.amdhsa_reserve_vcc 1
		.amdhsa_reserve_flat_scratch 0
		.amdhsa_float_round_mode_32 0
		.amdhsa_float_round_mode_16_64 0
		.amdhsa_float_denorm_mode_32 3
		.amdhsa_float_denorm_mode_16_64 3
		.amdhsa_dx10_clamp 1
		.amdhsa_ieee_mode 1
		.amdhsa_fp16_overflow 0
		.amdhsa_workgroup_processor_mode 1
		.amdhsa_memory_ordered 1
		.amdhsa_forward_progress 0
		.amdhsa_shared_vgpr_count 0
		.amdhsa_exception_fp_ieee_invalid_op 0
		.amdhsa_exception_fp_denorm_src 0
		.amdhsa_exception_fp_ieee_div_zero 0
		.amdhsa_exception_fp_ieee_overflow 0
		.amdhsa_exception_fp_ieee_underflow 0
		.amdhsa_exception_fp_ieee_inexact 0
		.amdhsa_exception_int_div_zero 0
	.end_amdhsa_kernel
	.text
.Lfunc_end0:
	.size	fft_rtc_back_len208_factors_13_16_wgs_144_tpt_16_sp_ip_CI_sbcc, .Lfunc_end0-fft_rtc_back_len208_factors_13_16_wgs_144_tpt_16_sp_ip_CI_sbcc
                                        ; -- End function
	.section	.AMDGPU.csdata,"",@progbits
; Kernel info:
; codeLenInByte = 8248
; NumSgprs: 46
; NumVgprs: 95
; ScratchSize: 0
; MemoryBound: 0
; FloatMode: 240
; IeeeMode: 1
; LDSByteSize: 0 bytes/workgroup (compile time only)
; SGPRBlocks: 5
; VGPRBlocks: 11
; NumSGPRsForWavesPerEU: 46
; NumVGPRsForWavesPerEU: 95
; Occupancy: 10
; WaveLimiterHint : 1
; COMPUTE_PGM_RSRC2:SCRATCH_EN: 0
; COMPUTE_PGM_RSRC2:USER_SGPR: 6
; COMPUTE_PGM_RSRC2:TRAP_HANDLER: 0
; COMPUTE_PGM_RSRC2:TGID_X_EN: 1
; COMPUTE_PGM_RSRC2:TGID_Y_EN: 0
; COMPUTE_PGM_RSRC2:TGID_Z_EN: 0
; COMPUTE_PGM_RSRC2:TIDIG_COMP_CNT: 0
	.text
	.p2alignl 6, 3214868480
	.fill 48, 4, 3214868480
	.type	__hip_cuid_31f6bcd43cb7d6f5,@object ; @__hip_cuid_31f6bcd43cb7d6f5
	.section	.bss,"aw",@nobits
	.globl	__hip_cuid_31f6bcd43cb7d6f5
__hip_cuid_31f6bcd43cb7d6f5:
	.byte	0                               ; 0x0
	.size	__hip_cuid_31f6bcd43cb7d6f5, 1

	.ident	"AMD clang version 19.0.0git (https://github.com/RadeonOpenCompute/llvm-project roc-6.4.0 25133 c7fe45cf4b819c5991fe208aaa96edf142730f1d)"
	.section	".note.GNU-stack","",@progbits
	.addrsig
	.addrsig_sym __hip_cuid_31f6bcd43cb7d6f5
	.amdgpu_metadata
---
amdhsa.kernels:
  - .args:
      - .actual_access:  read_only
        .address_space:  global
        .offset:         0
        .size:           8
        .value_kind:     global_buffer
      - .address_space:  global
        .offset:         8
        .size:           8
        .value_kind:     global_buffer
      - .offset:         16
        .size:           8
        .value_kind:     by_value
      - .actual_access:  read_only
        .address_space:  global
        .offset:         24
        .size:           8
        .value_kind:     global_buffer
      - .actual_access:  read_only
        .address_space:  global
        .offset:         32
        .size:           8
        .value_kind:     global_buffer
      - .offset:         40
        .size:           8
        .value_kind:     by_value
      - .actual_access:  read_only
        .address_space:  global
        .offset:         48
        .size:           8
        .value_kind:     global_buffer
      - .actual_access:  read_only
        .address_space:  global
        .offset:         56
        .size:           8
        .value_kind:     global_buffer
      - .offset:         64
        .size:           4
        .value_kind:     by_value
      - .actual_access:  read_only
        .address_space:  global
        .offset:         72
        .size:           8
        .value_kind:     global_buffer
      - .actual_access:  read_only
        .address_space:  global
        .offset:         80
        .size:           8
        .value_kind:     global_buffer
      - .address_space:  global
        .offset:         88
        .size:           8
        .value_kind:     global_buffer
    .group_segment_fixed_size: 0
    .kernarg_segment_align: 8
    .kernarg_segment_size: 96
    .language:       OpenCL C
    .language_version:
      - 2
      - 0
    .max_flat_workgroup_size: 144
    .name:           fft_rtc_back_len208_factors_13_16_wgs_144_tpt_16_sp_ip_CI_sbcc
    .private_segment_fixed_size: 0
    .sgpr_count:     46
    .sgpr_spill_count: 0
    .symbol:         fft_rtc_back_len208_factors_13_16_wgs_144_tpt_16_sp_ip_CI_sbcc.kd
    .uniform_work_group_size: 1
    .uses_dynamic_stack: false
    .vgpr_count:     95
    .vgpr_spill_count: 0
    .wavefront_size: 32
    .workgroup_processor_mode: 1
amdhsa.target:   amdgcn-amd-amdhsa--gfx1030
amdhsa.version:
  - 1
  - 2
...

	.end_amdgpu_metadata
